;; amdgpu-corpus repo=ROCm/rocFFT kind=compiled arch=gfx1030 opt=O3
	.text
	.amdgcn_target "amdgcn-amd-amdhsa--gfx1030"
	.amdhsa_code_object_version 6
	.protected	fft_rtc_fwd_len1584_factors_4_2_2_11_3_3_wgs_176_tpt_176_halfLds_half_ip_CI_sbrr_dirReg ; -- Begin function fft_rtc_fwd_len1584_factors_4_2_2_11_3_3_wgs_176_tpt_176_halfLds_half_ip_CI_sbrr_dirReg
	.globl	fft_rtc_fwd_len1584_factors_4_2_2_11_3_3_wgs_176_tpt_176_halfLds_half_ip_CI_sbrr_dirReg
	.p2align	8
	.type	fft_rtc_fwd_len1584_factors_4_2_2_11_3_3_wgs_176_tpt_176_halfLds_half_ip_CI_sbrr_dirReg,@function
fft_rtc_fwd_len1584_factors_4_2_2_11_3_3_wgs_176_tpt_176_halfLds_half_ip_CI_sbrr_dirReg: ; @fft_rtc_fwd_len1584_factors_4_2_2_11_3_3_wgs_176_tpt_176_halfLds_half_ip_CI_sbrr_dirReg
; %bb.0:
	s_clause 0x2
	s_load_dwordx2 s[14:15], s[4:5], 0x18
	s_load_dwordx4 s[8:11], s[4:5], 0x0
	s_load_dwordx2 s[12:13], s[4:5], 0x50
	v_mul_u32_u24_e32 v1, 0x175, v0
	v_mov_b32_e32 v3, 0
	v_add_nc_u32_sdwa v5, s6, v1 dst_sel:DWORD dst_unused:UNUSED_PAD src0_sel:DWORD src1_sel:WORD_1
	v_mov_b32_e32 v1, 0
	v_mov_b32_e32 v6, v3
	v_mov_b32_e32 v2, 0
	s_waitcnt lgkmcnt(0)
	s_load_dwordx2 s[2:3], s[14:15], 0x0
	v_cmp_lt_u64_e64 s0, s[10:11], 2
	s_and_b32 vcc_lo, exec_lo, s0
	s_cbranch_vccnz .LBB0_8
; %bb.1:
	s_load_dwordx2 s[0:1], s[4:5], 0x10
	v_mov_b32_e32 v1, 0
	s_add_u32 s6, s14, 8
	v_mov_b32_e32 v2, 0
	s_addc_u32 s7, s15, 0
	s_mov_b64 s[18:19], 1
	s_waitcnt lgkmcnt(0)
	s_add_u32 s16, s0, 8
	s_addc_u32 s17, s1, 0
.LBB0_2:                                ; =>This Inner Loop Header: Depth=1
	s_load_dwordx2 s[20:21], s[16:17], 0x0
                                        ; implicit-def: $vgpr7_vgpr8
	s_mov_b32 s0, exec_lo
	s_waitcnt lgkmcnt(0)
	v_or_b32_e32 v4, s21, v6
	v_cmpx_ne_u64_e32 0, v[3:4]
	s_xor_b32 s1, exec_lo, s0
	s_cbranch_execz .LBB0_4
; %bb.3:                                ;   in Loop: Header=BB0_2 Depth=1
	v_cvt_f32_u32_e32 v4, s20
	v_cvt_f32_u32_e32 v7, s21
	s_sub_u32 s0, 0, s20
	s_subb_u32 s22, 0, s21
	v_fmac_f32_e32 v4, 0x4f800000, v7
	v_rcp_f32_e32 v4, v4
	v_mul_f32_e32 v4, 0x5f7ffffc, v4
	v_mul_f32_e32 v7, 0x2f800000, v4
	v_trunc_f32_e32 v7, v7
	v_fmac_f32_e32 v4, 0xcf800000, v7
	v_cvt_u32_f32_e32 v7, v7
	v_cvt_u32_f32_e32 v4, v4
	v_mul_lo_u32 v8, s0, v7
	v_mul_hi_u32 v9, s0, v4
	v_mul_lo_u32 v10, s22, v4
	v_add_nc_u32_e32 v8, v9, v8
	v_mul_lo_u32 v9, s0, v4
	v_add_nc_u32_e32 v8, v8, v10
	v_mul_hi_u32 v10, v4, v9
	v_mul_lo_u32 v11, v4, v8
	v_mul_hi_u32 v12, v4, v8
	v_mul_hi_u32 v13, v7, v9
	v_mul_lo_u32 v9, v7, v9
	v_mul_hi_u32 v14, v7, v8
	v_mul_lo_u32 v8, v7, v8
	v_add_co_u32 v10, vcc_lo, v10, v11
	v_add_co_ci_u32_e32 v11, vcc_lo, 0, v12, vcc_lo
	v_add_co_u32 v9, vcc_lo, v10, v9
	v_add_co_ci_u32_e32 v9, vcc_lo, v11, v13, vcc_lo
	v_add_co_ci_u32_e32 v10, vcc_lo, 0, v14, vcc_lo
	v_add_co_u32 v8, vcc_lo, v9, v8
	v_add_co_ci_u32_e32 v9, vcc_lo, 0, v10, vcc_lo
	v_add_co_u32 v4, vcc_lo, v4, v8
	v_add_co_ci_u32_e32 v7, vcc_lo, v7, v9, vcc_lo
	v_mul_hi_u32 v8, s0, v4
	v_mul_lo_u32 v10, s22, v4
	v_mul_lo_u32 v9, s0, v7
	v_add_nc_u32_e32 v8, v8, v9
	v_mul_lo_u32 v9, s0, v4
	v_add_nc_u32_e32 v8, v8, v10
	v_mul_hi_u32 v10, v4, v9
	v_mul_lo_u32 v11, v4, v8
	v_mul_hi_u32 v12, v4, v8
	v_mul_hi_u32 v13, v7, v9
	v_mul_lo_u32 v9, v7, v9
	v_mul_hi_u32 v14, v7, v8
	v_mul_lo_u32 v8, v7, v8
	v_add_co_u32 v10, vcc_lo, v10, v11
	v_add_co_ci_u32_e32 v11, vcc_lo, 0, v12, vcc_lo
	v_add_co_u32 v9, vcc_lo, v10, v9
	v_add_co_ci_u32_e32 v9, vcc_lo, v11, v13, vcc_lo
	v_add_co_ci_u32_e32 v10, vcc_lo, 0, v14, vcc_lo
	v_add_co_u32 v8, vcc_lo, v9, v8
	v_add_co_ci_u32_e32 v9, vcc_lo, 0, v10, vcc_lo
	v_add_co_u32 v4, vcc_lo, v4, v8
	v_add_co_ci_u32_e32 v11, vcc_lo, v7, v9, vcc_lo
	v_mul_hi_u32 v13, v5, v4
	v_mad_u64_u32 v[9:10], null, v6, v4, 0
	v_mad_u64_u32 v[7:8], null, v5, v11, 0
	;; [unrolled: 1-line block ×3, first 2 shown]
	v_add_co_u32 v4, vcc_lo, v13, v7
	v_add_co_ci_u32_e32 v7, vcc_lo, 0, v8, vcc_lo
	v_add_co_u32 v4, vcc_lo, v4, v9
	v_add_co_ci_u32_e32 v4, vcc_lo, v7, v10, vcc_lo
	v_add_co_ci_u32_e32 v7, vcc_lo, 0, v12, vcc_lo
	v_add_co_u32 v4, vcc_lo, v4, v11
	v_add_co_ci_u32_e32 v9, vcc_lo, 0, v7, vcc_lo
	v_mul_lo_u32 v10, s21, v4
	v_mad_u64_u32 v[7:8], null, s20, v4, 0
	v_mul_lo_u32 v11, s20, v9
	v_sub_co_u32 v7, vcc_lo, v5, v7
	v_add3_u32 v8, v8, v11, v10
	v_sub_nc_u32_e32 v10, v6, v8
	v_subrev_co_ci_u32_e64 v10, s0, s21, v10, vcc_lo
	v_add_co_u32 v11, s0, v4, 2
	v_add_co_ci_u32_e64 v12, s0, 0, v9, s0
	v_sub_co_u32 v13, s0, v7, s20
	v_sub_co_ci_u32_e32 v8, vcc_lo, v6, v8, vcc_lo
	v_subrev_co_ci_u32_e64 v10, s0, 0, v10, s0
	v_cmp_le_u32_e32 vcc_lo, s20, v13
	v_cmp_eq_u32_e64 s0, s21, v8
	v_cndmask_b32_e64 v13, 0, -1, vcc_lo
	v_cmp_le_u32_e32 vcc_lo, s21, v10
	v_cndmask_b32_e64 v14, 0, -1, vcc_lo
	v_cmp_le_u32_e32 vcc_lo, s20, v7
	;; [unrolled: 2-line block ×3, first 2 shown]
	v_cndmask_b32_e64 v15, 0, -1, vcc_lo
	v_cmp_eq_u32_e32 vcc_lo, s21, v10
	v_cndmask_b32_e64 v7, v15, v7, s0
	v_cndmask_b32_e32 v10, v14, v13, vcc_lo
	v_add_co_u32 v13, vcc_lo, v4, 1
	v_add_co_ci_u32_e32 v14, vcc_lo, 0, v9, vcc_lo
	v_cmp_ne_u32_e32 vcc_lo, 0, v10
	v_cndmask_b32_e32 v8, v14, v12, vcc_lo
	v_cndmask_b32_e32 v10, v13, v11, vcc_lo
	v_cmp_ne_u32_e32 vcc_lo, 0, v7
	v_cndmask_b32_e32 v8, v9, v8, vcc_lo
	v_cndmask_b32_e32 v7, v4, v10, vcc_lo
.LBB0_4:                                ;   in Loop: Header=BB0_2 Depth=1
	s_andn2_saveexec_b32 s0, s1
	s_cbranch_execz .LBB0_6
; %bb.5:                                ;   in Loop: Header=BB0_2 Depth=1
	v_cvt_f32_u32_e32 v4, s20
	s_sub_i32 s1, 0, s20
	v_rcp_iflag_f32_e32 v4, v4
	v_mul_f32_e32 v4, 0x4f7ffffe, v4
	v_cvt_u32_f32_e32 v4, v4
	v_mul_lo_u32 v7, s1, v4
	v_mul_hi_u32 v7, v4, v7
	v_add_nc_u32_e32 v4, v4, v7
	v_mul_hi_u32 v4, v5, v4
	v_mul_lo_u32 v7, v4, s20
	v_add_nc_u32_e32 v8, 1, v4
	v_sub_nc_u32_e32 v7, v5, v7
	v_subrev_nc_u32_e32 v9, s20, v7
	v_cmp_le_u32_e32 vcc_lo, s20, v7
	v_cndmask_b32_e32 v7, v7, v9, vcc_lo
	v_cndmask_b32_e32 v4, v4, v8, vcc_lo
	v_cmp_le_u32_e32 vcc_lo, s20, v7
	v_add_nc_u32_e32 v8, 1, v4
	v_cndmask_b32_e32 v7, v4, v8, vcc_lo
	v_mov_b32_e32 v8, v3
.LBB0_6:                                ;   in Loop: Header=BB0_2 Depth=1
	s_or_b32 exec_lo, exec_lo, s0
	s_load_dwordx2 s[0:1], s[6:7], 0x0
	v_mul_lo_u32 v4, v8, s20
	v_mul_lo_u32 v11, v7, s21
	v_mad_u64_u32 v[9:10], null, v7, s20, 0
	s_add_u32 s18, s18, 1
	s_addc_u32 s19, s19, 0
	s_add_u32 s6, s6, 8
	s_addc_u32 s7, s7, 0
	;; [unrolled: 2-line block ×3, first 2 shown]
	v_add3_u32 v4, v10, v11, v4
	v_sub_co_u32 v5, vcc_lo, v5, v9
	v_sub_co_ci_u32_e32 v4, vcc_lo, v6, v4, vcc_lo
	s_waitcnt lgkmcnt(0)
	v_mul_lo_u32 v6, s1, v5
	v_mul_lo_u32 v4, s0, v4
	v_mad_u64_u32 v[1:2], null, s0, v5, v[1:2]
	v_cmp_ge_u64_e64 s0, s[18:19], s[10:11]
	s_and_b32 vcc_lo, exec_lo, s0
	v_add3_u32 v2, v6, v2, v4
	s_cbranch_vccnz .LBB0_9
; %bb.7:                                ;   in Loop: Header=BB0_2 Depth=1
	v_mov_b32_e32 v5, v7
	v_mov_b32_e32 v6, v8
	s_branch .LBB0_2
.LBB0_8:
	v_mov_b32_e32 v8, v6
	v_mov_b32_e32 v7, v5
.LBB0_9:
	s_lshl_b64 s[0:1], s[10:11], 3
	v_mul_hi_u32 v3, 0x1745d18, v0
	s_add_u32 s0, s14, s0
	s_addc_u32 s1, s15, s1
	s_load_dwordx2 s[0:1], s[0:1], 0x0
	s_load_dwordx2 s[4:5], s[4:5], 0x20
	v_mul_u32_u24_e32 v3, 0xb0, v3
	v_sub_nc_u32_e32 v10, v0, v3
	v_add_nc_u32_e32 v11, 0xb0, v10
	s_waitcnt lgkmcnt(0)
	v_mul_lo_u32 v4, s0, v8
	v_mul_lo_u32 v5, s1, v7
	v_mad_u64_u32 v[1:2], null, s0, v7, v[1:2]
	v_cmp_gt_u64_e32 vcc_lo, s[4:5], v[7:8]
	v_cmp_le_u64_e64 s0, s[4:5], v[7:8]
                                        ; implicit-def: $sgpr4
	v_add3_u32 v2, v5, v2, v4
                                        ; implicit-def: $vgpr4
	s_and_saveexec_b32 s1, s0
	s_xor_b32 s0, exec_lo, s1
; %bb.10:
	v_add_nc_u32_e32 v4, 0xb0, v10
	s_mov_b32 s4, 0
; %bb.11:
	s_or_saveexec_b32 s1, s0
	v_lshlrev_b64 v[0:1], 2, v[1:2]
	v_mov_b32_e32 v5, s4
	v_mov_b32_e32 v18, s4
	;; [unrolled: 1-line block ×4, first 2 shown]
                                        ; implicit-def: $vgpr16
                                        ; implicit-def: $vgpr6
                                        ; implicit-def: $vgpr24
                                        ; implicit-def: $vgpr8
                                        ; implicit-def: $vgpr26
                                        ; implicit-def: $vgpr12
                                        ; implicit-def: $vgpr23
                                        ; implicit-def: $vgpr13
                                        ; implicit-def: $vgpr21
                                        ; implicit-def: $vgpr3
                                        ; implicit-def: $vgpr25
                                        ; implicit-def: $vgpr7
                                        ; implicit-def: $vgpr30
                                        ; implicit-def: $vgpr14
                                        ; implicit-def: $vgpr27
                                        ; implicit-def: $vgpr15
                                        ; implicit-def: $vgpr9
                                        ; implicit-def: $vgpr20
                                        ; implicit-def: $vgpr19
                                        ; implicit-def: $vgpr22
	s_xor_b32 exec_lo, exec_lo, s1
	s_cbranch_execz .LBB0_15
; %bb.12:
	v_add_nc_u32_e32 v9, 0x18c, v10
	v_mad_u64_u32 v[2:3], null, s2, v10, 0
	v_add_nc_u32_e32 v12, 0x318, v10
	v_add_nc_u32_e32 v15, 0x4a4, v10
	v_mad_u64_u32 v[5:6], null, s2, v9, 0
	v_mad_u64_u32 v[17:18], null, s2, v11, 0
	;; [unrolled: 1-line block ×4, first 2 shown]
	v_mov_b32_e32 v4, v6
	v_add_nc_u32_e32 v30, 0x554, v10
	s_mov_b32 s4, exec_lo
	v_mov_b32_e32 v6, v8
	v_mad_u64_u32 v[8:9], null, s3, v9, v[4:5]
	v_lshlrev_b64 v[2:3], 2, v[2:3]
	v_add_co_u32 v4, s0, s12, v0
	v_mad_u64_u32 v[12:13], null, s3, v12, v[6:7]
	v_mad_u64_u32 v[13:14], null, s2, v15, 0
	v_mov_b32_e32 v6, v8
	v_add_co_ci_u32_e64 v16, s0, s13, v1, s0
	v_add_co_u32 v2, s0, v4, v2
	v_lshlrev_b64 v[5:6], 2, v[5:6]
	v_mov_b32_e32 v8, v12
	v_add_nc_u32_e32 v12, 0x23c, v10
	v_mov_b32_e32 v9, v14
	v_add_co_ci_u32_e64 v3, s0, v16, v3, s0
	v_add_co_u32 v21, s0, v4, v5
	v_mad_u64_u32 v[19:20], null, s2, v12, 0
	v_mad_u64_u32 v[14:15], null, s3, v15, v[9:10]
	v_add_co_ci_u32_e64 v22, s0, v16, v6, s0
	v_lshlrev_b64 v[6:7], 2, v[7:8]
	v_mov_b32_e32 v5, v18
	v_add_nc_u32_e32 v15, 0x3c8, v10
	v_mad_u64_u32 v[8:9], null, s3, v11, v[5:6]
	v_mov_b32_e32 v5, v20
	v_mad_u64_u32 v[23:24], null, s2, v15, 0
	v_add_co_u32 v28, s0, v4, v6
	v_mad_u64_u32 v[25:26], null, s3, v12, v[5:6]
	v_add_co_ci_u32_e64 v29, s0, v16, v7, s0
	v_lshlrev_b64 v[6:7], 2, v[13:14]
	v_mad_u64_u32 v[26:27], null, s2, v30, 0
	v_mov_b32_e32 v5, v24
	v_mov_b32_e32 v18, v8
	;; [unrolled: 1-line block ×3, first 2 shown]
	v_add_co_u32 v13, s0, v4, v6
	v_mad_u64_u32 v[8:9], null, s3, v15, v[5:6]
	v_add_co_ci_u32_e64 v14, s0, v16, v7, s0
	v_lshlrev_b64 v[6:7], 2, v[17:18]
	v_mov_b32_e32 v5, v27
                                        ; implicit-def: $vgpr9
	v_mov_b32_e32 v24, v8
	v_mad_u64_u32 v[17:18], null, s3, v30, v[5:6]
	v_lshlrev_b64 v[18:19], 2, v[19:20]
	v_add_co_u32 v30, s0, v4, v6
	v_lshlrev_b64 v[5:6], 2, v[23:24]
	v_add_co_ci_u32_e64 v31, s0, v16, v7, s0
	v_mov_b32_e32 v27, v17
	v_add_co_u32 v17, s0, v4, v18
	v_add_co_ci_u32_e64 v18, s0, v16, v19, s0
	v_lshlrev_b64 v[7:8], 2, v[26:27]
	v_add_co_u32 v19, s0, v4, v5
	v_add_co_ci_u32_e64 v20, s0, v16, v6, s0
	v_mov_b32_e32 v5, 0
	v_add_co_u32 v23, s0, v4, v7
	v_add_co_ci_u32_e64 v24, s0, v16, v8, s0
	s_clause 0x7
	global_load_dword v6, v[2:3], off
	global_load_dword v8, v[21:22], off
	;; [unrolled: 1-line block ×8, first 2 shown]
	v_mov_b32_e32 v17, 0
	v_mov_b32_e32 v2, 0
	;; [unrolled: 1-line block ×3, first 2 shown]
                                        ; implicit-def: $vgpr22
                                        ; implicit-def: $vgpr19
                                        ; implicit-def: $vgpr20
	v_cmpx_gt_u32_e32 44, v10
	s_cbranch_execz .LBB0_14
; %bb.13:
	v_add_nc_u32_e32 v25, 0x160, v10
	v_add_nc_u32_e32 v26, 0x2ec, v10
	;; [unrolled: 1-line block ×4, first 2 shown]
	v_mad_u64_u32 v[17:18], null, s2, v25, 0
	v_mad_u64_u32 v[19:20], null, s2, v26, 0
	;; [unrolled: 1-line block ×4, first 2 shown]
	v_mov_b32_e32 v2, v18
	v_mov_b32_e32 v5, v20
	;; [unrolled: 1-line block ×3, first 2 shown]
	s_waitcnt vmcnt(3)
	v_mad_u64_u32 v[24:25], null, s3, v25, v[2:3]
	v_mov_b32_e32 v9, v22
	v_mad_u64_u32 v[25:26], null, s3, v26, v[5:6]
	v_mad_u64_u32 v[26:27], null, s3, v27, v[9:10]
	;; [unrolled: 1-line block ×3, first 2 shown]
	v_mov_b32_e32 v18, v24
	v_mov_b32_e32 v20, v25
	;; [unrolled: 1-line block ×3, first 2 shown]
	v_lshlrev_b64 v[17:18], 2, v[17:18]
	v_lshlrev_b64 v[19:20], 2, v[19:20]
	v_mov_b32_e32 v24, v27
	v_lshlrev_b64 v[21:22], 2, v[21:22]
	v_add_co_u32 v17, s0, v4, v17
	v_add_co_ci_u32_e64 v18, s0, v16, v18, s0
	v_add_co_u32 v19, s0, v4, v19
	v_lshlrev_b64 v[23:24], 2, v[23:24]
	v_add_co_ci_u32_e64 v20, s0, v16, v20, s0
	v_add_co_u32 v21, s0, v4, v21
	v_add_co_ci_u32_e64 v22, s0, v16, v22, s0
	v_add_co_u32 v4, s0, v4, v23
	v_add_co_ci_u32_e64 v5, s0, v16, v24, s0
	s_clause 0x3
	global_load_dword v18, v[17:18], off
	global_load_dword v17, v[19:20], off
	global_load_dword v20, v[21:22], off
	global_load_dword v22, v[4:5], off
	s_waitcnt vmcnt(3)
	v_lshrrev_b32_e32 v5, 16, v18
	s_waitcnt vmcnt(2)
	v_lshrrev_b32_e32 v2, 16, v17
	;; [unrolled: 2-line block ×4, first 2 shown]
.LBB0_14:
	s_or_b32 exec_lo, exec_lo, s4
	s_waitcnt vmcnt(7)
	v_lshrrev_b32_e32 v16, 16, v6
	s_waitcnt vmcnt(6)
	v_lshrrev_b32_e32 v24, 16, v8
	;; [unrolled: 2-line block ×8, first 2 shown]
	v_mov_b32_e32 v4, v11
.LBB0_15:
	s_or_b32 exec_lo, exec_lo, s1
	v_sub_f16_e32 v12, v6, v12
	v_sub_f16_e32 v31, v8, v13
	;; [unrolled: 1-line block ×5, first 2 shown]
	v_fma_f16 v6, v6, 2.0, -v12
	v_fma_f16 v8, v8, 2.0, -v31
	v_sub_f16_e32 v20, v18, v20
	v_sub_f16_e32 v15, v17, v22
	;; [unrolled: 1-line block ×3, first 2 shown]
	v_lshl_add_u32 v32, v10, 3, 0
	v_sub_f16_e32 v22, v6, v8
	v_fma_f16 v8, v3, 2.0, -v23
	v_fma_f16 v3, v7, 2.0, -v14
	;; [unrolled: 1-line block ×4, first 2 shown]
	v_sub_f16_e32 v7, v2, v19
	v_sub_f16_e32 v19, v12, v35
	v_fma_f16 v6, v6, 2.0, -v22
	v_sub_f16_e32 v27, v8, v3
	v_sub_f16_e32 v3, v18, v13
	;; [unrolled: 1-line block ×3, first 2 shown]
	v_fma_f16 v12, v12, 2.0, -v19
	v_sub_f16_e32 v13, v20, v7
	v_fma_f16 v29, v8, 2.0, -v27
	v_fma_f16 v17, v18, 2.0, -v3
	v_pack_b32_f16 v18, v22, v19
	v_pack_b32_f16 v19, v6, v12
	v_add_nc_u32_e32 v12, 0x160, v10
	v_fma_f16 v23, v23, 2.0, -v28
	v_fma_f16 v8, v20, 2.0, -v13
	v_lshl_add_u32 v6, v4, 3, 0
	v_cmp_gt_u32_e64 s0, 44, v10
	v_lshl_add_u32 v34, v12, 3, 0
	v_pack_b32_f16 v20, v27, v28
	v_pack_b32_f16 v22, v29, v23
	ds_write2_b32 v32, v19, v18 offset1:1
	ds_write2_b32 v6, v22, v20 offset1:1
	s_and_saveexec_b32 s1, s0
	s_cbranch_execz .LBB0_17
; %bb.16:
	v_perm_b32 v13, v13, v3, 0x5040100
	v_perm_b32 v18, v8, v17, 0x5040100
	ds_write2_b32 v34, v18, v13 offset1:1
.LBB0_17:
	s_or_b32 exec_lo, exec_lo, s1
	v_mad_i32_i24 v13, v10, -6, v32
	v_mad_i32_i24 v19, v4, -6, v6
	s_waitcnt lgkmcnt(0)
	s_barrier
	buffer_gl0_inv
	ds_read_u16 v22, v13
	ds_read_u16 v27, v13 offset:704
	ds_read_u16 v20, v13 offset:1936
	;; [unrolled: 1-line block ×3, first 2 shown]
	ds_read_u16 v28, v19
	ds_read_u16 v19, v13 offset:2640
	ds_read_u16 v23, v13 offset:1584
	;; [unrolled: 1-line block ×3, first 2 shown]
	v_cmp_gt_u32_e64 s1, 0x58, v10
	s_and_saveexec_b32 s4, s1
	s_cbranch_execz .LBB0_19
; %bb.18:
	ds_read_u16 v17, v13 offset:1408
	ds_read_u16 v8, v13 offset:2992
.LBB0_19:
	s_or_b32 exec_lo, exec_lo, s4
	v_sub_f16_e32 v26, v16, v26
	v_sub_f16_e32 v30, v21, v30
	v_fma_f16 v24, v24, 2.0, -v35
	v_sub_f16_e32 v9, v5, v9
	v_fma_f16 v25, v25, 2.0, -v33
	v_fma_f16 v16, v16, 2.0, -v26
	;; [unrolled: 1-line block ×5, first 2 shown]
	v_add_f16_e32 v31, v26, v31
	v_sub_f16_e32 v33, v16, v24
	v_add_f16_e32 v14, v30, v14
	v_sub_f16_e32 v25, v21, v25
	v_sub_f16_e32 v7, v5, v2
	v_add_f16_e32 v2, v9, v15
	v_fma_f16 v16, v16, 2.0, -v33
	v_fma_f16 v15, v26, 2.0, -v31
	;; [unrolled: 1-line block ×4, first 2 shown]
	v_mul_i32_i24_e32 v36, -6, v4
	v_fma_f16 v24, v5, 2.0, -v7
	v_fma_f16 v26, v9, 2.0, -v2
	v_pack_b32_f16 v5, v16, v15
	v_pack_b32_f16 v9, v33, v31
	v_pack_b32_f16 v15, v21, v30
	v_pack_b32_f16 v14, v25, v14
	s_waitcnt lgkmcnt(0)
	s_barrier
	buffer_gl0_inv
	ds_write2_b32 v32, v5, v9 offset1:1
	ds_write2_b32 v6, v15, v14 offset1:1
	s_and_saveexec_b32 s4, s0
	s_cbranch_execz .LBB0_21
; %bb.20:
	v_perm_b32 v2, v2, v7, 0x5040100
	v_perm_b32 v5, v26, v24, 0x5040100
	ds_write2_b32 v34, v5, v2 offset1:1
.LBB0_21:
	s_or_b32 exec_lo, exec_lo, s4
	v_add_nc_u32_e32 v16, v6, v36
	s_waitcnt lgkmcnt(0)
	s_barrier
	buffer_gl0_inv
	ds_read_u16 v30, v13
	ds_read_u16 v31, v13 offset:704
	ds_read_u16 v36, v13 offset:1936
	;; [unrolled: 1-line block ×3, first 2 shown]
	ds_read_u16 v33, v16
	ds_read_u16 v38, v13 offset:2640
	ds_read_u16 v39, v13 offset:1584
	;; [unrolled: 1-line block ×3, first 2 shown]
	s_and_saveexec_b32 s0, s1
	s_cbranch_execz .LBB0_23
; %bb.22:
	ds_read_u16 v24, v13 offset:1408
	ds_read_u16 v26, v13 offset:2992
.LBB0_23:
	s_or_b32 exec_lo, exec_lo, s0
	v_and_b32_e32 v35, 3, v10
	v_lshlrev_b32_e32 v4, 1, v4
	v_lshlrev_b32_e32 v6, 1, v12
	v_add_nc_u32_e32 v14, 0x210, v10
	v_add_nc_u32_e32 v15, 0x2c0, v10
	v_lshlrev_b32_e32 v2, 2, v35
	v_and_or_b32 v21, 0x3f8, v4, v35
	v_and_or_b32 v32, 0x7f8, v6, v35
	v_lshlrev_b32_e32 v25, 1, v14
	v_lshlrev_b32_e32 v5, 1, v15
	global_load_dword v40, v2, s[8:9]
	v_lshlrev_b32_e32 v2, 1, v10
	v_lshl_add_u32 v46, v21, 1, 0
	v_lshl_add_u32 v45, v32, 1, 0
	v_and_or_b32 v41, 0x7f8, v25, v35
	s_waitcnt vmcnt(0) lgkmcnt(0)
	v_and_or_b32 v9, 0x1f8, v2, v35
	s_barrier
	buffer_gl0_inv
	v_lshl_add_u32 v41, v41, 1, 0
	v_lshl_add_u32 v47, v9, 1, 0
	v_mul_f16_sdwa v9, v39, v40 dst_sel:DWORD dst_unused:UNUSED_PAD src0_sel:DWORD src1_sel:WORD_1
	v_mul_f16_sdwa v43, v26, v40 dst_sel:DWORD dst_unused:UNUSED_PAD src0_sel:DWORD src1_sel:WORD_1
	v_mul_f16_sdwa v21, v36, v40 dst_sel:DWORD dst_unused:UNUSED_PAD src0_sel:DWORD src1_sel:WORD_1
	v_mul_f16_sdwa v32, v37, v40 dst_sel:DWORD dst_unused:UNUSED_PAD src0_sel:DWORD src1_sel:WORD_1
	v_mul_f16_sdwa v42, v38, v40 dst_sel:DWORD dst_unused:UNUSED_PAD src0_sel:DWORD src1_sel:WORD_1
	v_fma_f16 v9, v23, v40, -v9
	v_fma_f16 v43, v8, v40, -v43
	v_fma_f16 v21, v20, v40, -v21
	v_fma_f16 v32, v18, v40, -v32
	v_fma_f16 v42, v19, v40, -v42
	v_sub_f16_e32 v44, v22, v9
	v_sub_f16_e32 v9, v17, v43
	;; [unrolled: 1-line block ×5, first 2 shown]
	v_fma_f16 v22, v22, 2.0, -v44
	v_fma_f16 v32, v17, 2.0, -v9
	;; [unrolled: 1-line block ×5, first 2 shown]
	ds_write_b16 v47, v44 offset:8
	ds_write_b16 v47, v22
	ds_write_b16 v46, v28
	ds_write_b16 v46, v21 offset:8
	ds_write_b16 v45, v27
	ds_write_b16 v45, v48 offset:8
	;; [unrolled: 2-line block ×3, first 2 shown]
	s_and_saveexec_b32 s0, s1
	s_cbranch_execz .LBB0_25
; %bb.24:
	v_and_or_b32 v17, 0x7f8, v5, v35
	v_lshl_add_u32 v17, v17, 1, 0
	ds_write_b16 v17, v32
	ds_write_b16 v17, v9 offset:8
.LBB0_25:
	s_or_b32 exec_lo, exec_lo, s0
	s_waitcnt lgkmcnt(0)
	s_barrier
	buffer_gl0_inv
	ds_read_u16 v27, v13
	ds_read_u16 v42, v13 offset:704
	ds_read_u16 v22, v13 offset:1936
	;; [unrolled: 1-line block ×3, first 2 shown]
	ds_read_u16 v43, v16
	ds_read_u16 v21, v13 offset:2640
	ds_read_u16 v28, v13 offset:1584
	;; [unrolled: 1-line block ×3, first 2 shown]
	s_and_saveexec_b32 s0, s1
	s_cbranch_execz .LBB0_27
; %bb.26:
	ds_read_u16 v32, v13 offset:1408
	ds_read_u16 v9, v13 offset:2992
.LBB0_27:
	s_or_b32 exec_lo, exec_lo, s0
	v_mul_f16_sdwa v23, v23, v40 dst_sel:DWORD dst_unused:UNUSED_PAD src0_sel:DWORD src1_sel:WORD_1
	v_mul_f16_sdwa v8, v8, v40 dst_sel:DWORD dst_unused:UNUSED_PAD src0_sel:DWORD src1_sel:WORD_1
	;; [unrolled: 1-line block ×5, first 2 shown]
	v_fmac_f16_e32 v23, v39, v40
	v_fmac_f16_e32 v8, v26, v40
	;; [unrolled: 1-line block ×5, first 2 shown]
	v_sub_f16_e32 v23, v30, v23
	v_sub_f16_e32 v8, v24, v8
	;; [unrolled: 1-line block ×5, first 2 shown]
	v_fma_f16 v26, v30, 2.0, -v23
	v_fma_f16 v29, v24, 2.0, -v8
	;; [unrolled: 1-line block ×5, first 2 shown]
	s_waitcnt lgkmcnt(0)
	s_barrier
	buffer_gl0_inv
	ds_write_b16 v47, v26
	ds_write_b16 v47, v23 offset:8
	ds_write_b16 v46, v30
	ds_write_b16 v46, v20 offset:8
	;; [unrolled: 2-line block ×4, first 2 shown]
	s_and_saveexec_b32 s0, s1
	s_cbranch_execz .LBB0_29
; %bb.28:
	v_and_or_b32 v18, 0x7f8, v5, v35
	v_lshl_add_u32 v18, v18, 1, 0
	ds_write_b16 v18, v29
	ds_write_b16 v18, v8 offset:8
.LBB0_29:
	s_or_b32 exec_lo, exec_lo, s0
	s_waitcnt lgkmcnt(0)
	s_barrier
	buffer_gl0_inv
	ds_read_u16 v33, v13
	ds_read_u16 v34, v13 offset:704
	ds_read_u16 v38, v13 offset:1936
	;; [unrolled: 1-line block ×3, first 2 shown]
	ds_read_u16 v35, v16
	ds_read_u16 v40, v13 offset:2640
	ds_read_u16 v41, v13 offset:1584
	;; [unrolled: 1-line block ×3, first 2 shown]
	s_and_saveexec_b32 s0, s1
	s_cbranch_execz .LBB0_31
; %bb.30:
	ds_read_u16 v29, v13 offset:1408
	ds_read_u16 v8, v13 offset:2992
.LBB0_31:
	s_or_b32 exec_lo, exec_lo, s0
	v_and_b32_e32 v36, 7, v10
	v_lshlrev_b32_e32 v18, 2, v36
	v_and_or_b32 v19, 0x3f0, v4, v36
	v_and_or_b32 v20, 0x7f0, v6, v36
	;; [unrolled: 1-line block ×3, first 2 shown]
	global_load_dword v45, v18, s[8:9] offset:16
	v_and_or_b32 v18, 0x1f0, v2, v36
	v_lshl_add_u32 v49, v19, 1, 0
	v_lshl_add_u32 v48, v20, 1, 0
	;; [unrolled: 1-line block ×3, first 2 shown]
	s_waitcnt vmcnt(0) lgkmcnt(0)
	v_lshl_add_u32 v50, v18, 1, 0
	s_barrier
	buffer_gl0_inv
	v_mul_f16_sdwa v18, v41, v45 dst_sel:DWORD dst_unused:UNUSED_PAD src0_sel:DWORD src1_sel:WORD_1
	v_mul_f16_sdwa v19, v38, v45 dst_sel:DWORD dst_unused:UNUSED_PAD src0_sel:DWORD src1_sel:WORD_1
	;; [unrolled: 1-line block ×5, first 2 shown]
	v_fma_f16 v18, v28, v45, -v18
	v_fma_f16 v19, v22, v45, -v19
	;; [unrolled: 1-line block ×5, first 2 shown]
	v_sub_f16_e32 v25, v27, v18
	v_sub_f16_e32 v20, v43, v19
	;; [unrolled: 1-line block ×5, first 2 shown]
	v_fma_f16 v18, v27, 2.0, -v25
	v_fma_f16 v31, v43, 2.0, -v20
	;; [unrolled: 1-line block ×5, first 2 shown]
	ds_write_b16 v50, v25 offset:16
	ds_write_b16 v50, v18
	ds_write_b16 v49, v31
	ds_write_b16 v49, v20 offset:16
	ds_write_b16 v48, v30
	ds_write_b16 v48, v19 offset:16
	;; [unrolled: 2-line block ×3, first 2 shown]
	s_and_saveexec_b32 s0, s1
	s_cbranch_execz .LBB0_33
; %bb.32:
	v_and_or_b32 v32, 0x7f0, v5, v36
	v_lshl_add_u32 v32, v32, 1, 0
	ds_write_b16 v32, v26
	ds_write_b16 v32, v23 offset:16
.LBB0_33:
	s_or_b32 exec_lo, exec_lo, s0
	v_cmp_gt_u32_e64 s0, 0x90, v10
	s_waitcnt lgkmcnt(0)
	s_barrier
	buffer_gl0_inv
	s_and_saveexec_b32 s4, s0
	s_cbranch_execz .LBB0_35
; %bb.34:
	ds_read_u16 v18, v13
	ds_read_u16 v25, v13 offset:288
	ds_read_u16 v31, v13 offset:576
	;; [unrolled: 1-line block ×10, first 2 shown]
.LBB0_35:
	s_or_b32 exec_lo, exec_lo, s4
	v_mul_f16_sdwa v28, v28, v45 dst_sel:DWORD dst_unused:UNUSED_PAD src0_sel:DWORD src1_sel:WORD_1
	v_mul_f16_sdwa v22, v22, v45 dst_sel:DWORD dst_unused:UNUSED_PAD src0_sel:DWORD src1_sel:WORD_1
	;; [unrolled: 1-line block ×5, first 2 shown]
	v_fmac_f16_e32 v28, v41, v45
	v_fmac_f16_e32 v22, v38, v45
	;; [unrolled: 1-line block ×5, first 2 shown]
	v_sub_f16_e32 v39, v33, v28
	v_sub_f16_e32 v44, v35, v22
	v_sub_f16_e32 v43, v34, v17
	v_sub_f16_e32 v41, v37, v21
	v_sub_f16_e32 v32, v29, v9
	v_fma_f16 v8, v33, 2.0, -v39
	v_fma_f16 v46, v35, 2.0, -v44
	;; [unrolled: 1-line block ×5, first 2 shown]
	s_waitcnt lgkmcnt(0)
	s_barrier
	buffer_gl0_inv
	ds_write_b16 v50, v8
	ds_write_b16 v50, v39 offset:16
	ds_write_b16 v49, v46
	ds_write_b16 v49, v44 offset:16
	;; [unrolled: 2-line block ×4, first 2 shown]
	s_and_saveexec_b32 s4, s1
	s_cbranch_execz .LBB0_37
; %bb.36:
	v_and_or_b32 v5, 0x7f0, v5, v36
	v_lshl_add_u32 v5, v5, 1, 0
	ds_write_b16 v5, v33
	ds_write_b16 v5, v32 offset:16
.LBB0_37:
	s_or_b32 exec_lo, exec_lo, s4
	s_waitcnt lgkmcnt(0)
	s_barrier
	buffer_gl0_inv
	s_and_saveexec_b32 s1, s0
	s_cbranch_execz .LBB0_39
; %bb.38:
	ds_read_u16 v8, v13
	ds_read_u16 v39, v13 offset:288
	ds_read_u16 v46, v13 offset:576
	;; [unrolled: 1-line block ×10, first 2 shown]
.LBB0_39:
	s_or_b32 exec_lo, exec_lo, s1
	v_and_b32_e32 v5, 15, v10
	v_mul_u32_u24_e32 v9, 10, v5
	v_lshlrev_b32_e32 v9, 2, v9
	s_clause 0x2
	global_load_dwordx4 v[47:50], v9, s[8:9] offset:48
	global_load_dwordx4 v[51:54], v9, s[8:9] offset:64
	global_load_dwordx2 v[55:56], v9, s[8:9] offset:80
	s_waitcnt vmcnt(0) lgkmcnt(0)
	s_barrier
	buffer_gl0_inv
	v_mul_f16_sdwa v34, v39, v47 dst_sel:DWORD dst_unused:UNUSED_PAD src0_sel:DWORD src1_sel:WORD_1
	v_mul_f16_sdwa v40, v25, v47 dst_sel:DWORD dst_unused:UNUSED_PAD src0_sel:DWORD src1_sel:WORD_1
	;; [unrolled: 1-line block ×20, first 2 shown]
	v_fma_f16 v42, v25, v47, -v34
	v_fmac_f16_e32 v40, v39, v47
	v_fma_f16 v39, v31, v48, -v57
	v_fmac_f16_e32 v38, v46, v48
	;; [unrolled: 2-line block ×10, first 2 shown]
	v_lshrrev_b32_e32 v3, 4, v10
	s_and_saveexec_b32 s1, s0
	s_cbranch_execz .LBB0_41
; %bb.40:
	v_sub_f16_e32 v24, v40, v37
	v_add_f16_e32 v23, v42, v43
	v_sub_f16_e32 v30, v38, v36
	v_add_f16_e32 v26, v39, v41
	v_sub_f16_e32 v32, v28, v29
	v_mul_f16_e32 v47, 0xb482, v24
	v_add_f16_e32 v31, v34, v35
	v_mul_f16_e32 v48, 0x3853, v30
	v_sub_f16_e32 v44, v21, v22
	v_mul_f16_e32 v49, 0xba0c, v32
	v_fmamk_f16 v52, v23, 0xbbad, v47
	v_add_f16_e32 v33, v25, v27
	v_fmamk_f16 v55, v26, 0x3abb, v48
	v_sub_f16_e32 v46, v9, v17
	v_mul_f16_e32 v50, 0x3b47, v44
	v_add_f16_e32 v52, v18, v52
	v_fmamk_f16 v56, v31, 0xb93d, v49
	v_fma_f16 v47, v23, 0xbbad, -v47
	v_add_f16_e32 v45, v19, v20
	v_mul_f16_e32 v51, 0xbbeb, v46
	v_add_f16_e32 v52, v55, v52
	v_mul_f16_e32 v53, 0xba0c, v24
	v_fmamk_f16 v57, v33, 0x36a6, v50
	v_fma_f16 v48, v26, 0x3abb, -v48
	v_add_f16_e32 v47, v18, v47
	v_add_f16_e32 v52, v56, v52
	v_mul_f16_e32 v54, 0x3beb, v30
	v_fmamk_f16 v55, v45, 0xb08e, v51
	v_fma_f16 v49, v31, 0xb93d, -v49
	v_fmamk_f16 v56, v23, 0xb93d, v53
	v_add_f16_e32 v47, v48, v47
	v_add_f16_e32 v48, v57, v52
	v_fma_f16 v50, v33, 0x36a6, -v50
	v_mul_f16_e32 v57, 0x3482, v30
	v_add_f16_e32 v52, v18, v56
	v_add_f16_e32 v47, v49, v47
	v_add_f16_e32 v48, v55, v48
	v_fmamk_f16 v49, v26, 0xb08e, v54
	v_mul_f16_e32 v55, 0xb853, v32
	v_mul_f16_e32 v56, 0xbbeb, v24
	v_add_f16_e32 v47, v50, v47
	v_fma_f16 v50, v45, 0xb08e, -v51
	v_fma_f16 v51, v23, 0xb93d, -v53
	v_add_f16_e32 v49, v49, v52
	v_fmamk_f16 v52, v31, 0x3abb, v55
	v_mul_f16_e32 v53, 0xb482, v44
	v_add_f16_e32 v47, v50, v47
	v_add_f16_e32 v50, v18, v51
	v_fma_f16 v51, v26, 0xb08e, -v54
	v_add_f16_e32 v49, v52, v49
	v_fmamk_f16 v52, v33, 0xbbad, v53
	v_mul_f16_e32 v54, 0x3b47, v46
	v_mul_f16_e32 v58, 0xbb47, v24
	v_add_f16_e32 v50, v51, v50
	v_fma_f16 v51, v31, 0x3abb, -v55
	v_add_f16_e32 v49, v52, v49
	v_fmamk_f16 v52, v45, 0x36a6, v54
	v_fmamk_f16 v55, v23, 0xb08e, v56
	v_add_f16_e32 v7, v18, v42
	v_add_f16_e32 v50, v51, v50
	v_fma_f16 v51, v33, 0xbbad, -v53
	v_add_f16_e32 v49, v52, v49
	v_add_f16_e32 v52, v18, v55
	v_fmamk_f16 v53, v26, 0xbbad, v57
	v_mul_f16_e32 v55, 0x3b47, v32
	v_add_f16_e32 v50, v51, v50
	v_fma_f16 v51, v45, 0x36a6, -v54
	v_fma_f16 v54, v23, 0xb08e, -v56
	v_add_f16_e32 v52, v53, v52
	v_fmamk_f16 v53, v31, 0x36a6, v55
	v_mul_f16_e32 v56, 0xb853, v44
	v_add_f16_e32 v50, v51, v50
	v_add_f16_e32 v51, v18, v54
	v_fma_f16 v54, v26, 0xbbad, -v57
	v_add_f16_e32 v52, v53, v52
	v_fmamk_f16 v53, v33, 0x3abb, v56
	v_mul_f16_e32 v57, 0xba0c, v46
	v_mul_f16_e32 v59, 0xba0c, v30
	v_add_f16_e32 v51, v54, v51
	v_fma_f16 v54, v31, 0x36a6, -v55
	v_add_f16_e32 v52, v53, v52
	v_fmamk_f16 v53, v45, 0xb93d, v57
	v_fmamk_f16 v55, v23, 0x36a6, v58
	v_add_f16_e32 v7, v7, v39
	v_add_f16_e32 v51, v54, v51
	v_fma_f16 v54, v33, 0x3abb, -v56
	v_add_f16_e32 v52, v53, v52
	v_add_f16_e32 v53, v18, v55
	v_fmamk_f16 v55, v26, 0xb93d, v59
	v_mul_f16_e32 v56, 0x3482, v32
	v_add_f16_e32 v7, v7, v34
	v_add_f16_e32 v51, v54, v51
	v_fma_f16 v54, v45, 0xb93d, -v57
	v_fma_f16 v57, v23, 0x36a6, -v58
	v_add_f16_e32 v53, v55, v53
	v_fmamk_f16 v55, v31, 0xbbad, v56
	v_mul_f16_e32 v58, 0x3beb, v44
	v_add_f16_e32 v7, v7, v25
	v_mul_f16_e32 v24, 0xb853, v24
	v_mul_f16_e32 v30, 0xbb47, v30
	v_add_f16_e32 v53, v55, v53
	v_fmamk_f16 v55, v33, 0xb08e, v58
	v_add_f16_e32 v7, v7, v19
	v_mul_f16_e32 v32, 0xbbeb, v32
	v_add_f16_e32 v51, v54, v51
	v_add_f16_e32 v54, v18, v57
	;; [unrolled: 1-line block ×3, first 2 shown]
	v_fma_f16 v55, v23, 0x3abb, -v24
	v_add_f16_e32 v7, v7, v20
	v_fmamk_f16 v23, v23, 0x3abb, v24
	v_fma_f16 v57, v26, 0xb93d, -v59
	v_fma_f16 v56, v31, 0xbbad, -v56
	v_add_f16_e32 v24, v18, v55
	v_fma_f16 v55, v26, 0x36a6, -v30
	v_add_f16_e32 v7, v7, v27
	v_add_f16_e32 v18, v18, v23
	v_fmamk_f16 v23, v26, 0x36a6, v30
	v_fma_f16 v26, v31, 0xb08e, -v32
	v_add_f16_e32 v24, v55, v24
	v_mul_f16_e32 v30, 0xba0c, v44
	v_add_f16_e32 v54, v57, v54
	v_add_f16_e32 v7, v7, v35
	;; [unrolled: 1-line block ×3, first 2 shown]
	v_fmamk_f16 v23, v31, 0xb08e, v32
	v_add_f16_e32 v24, v26, v24
	v_fma_f16 v26, v33, 0xb93d, -v30
	v_mul_u32_u24_e32 v31, 0xb0, v3
	v_mul_f16_e32 v32, 0xb482, v46
	v_mul_f16_e32 v59, 0x3853, v46
	v_add_f16_e32 v54, v56, v54
	v_fma_f16 v56, v33, 0xb08e, -v58
	v_add_f16_e32 v7, v7, v41
	v_add_f16_e32 v18, v23, v18
	v_fmamk_f16 v23, v33, 0xb93d, v30
	v_add_f16_e32 v24, v26, v24
	v_or_b32_e32 v26, v31, v5
	v_fma_f16 v30, v45, 0xbbad, -v32
	v_add_f16_e32 v44, v56, v54
	v_fma_f16 v31, v45, 0x3abb, -v59
	v_add_f16_e32 v7, v7, v43
	v_fmamk_f16 v57, v45, 0x3abb, v59
	v_add_f16_e32 v18, v23, v18
	v_fmamk_f16 v23, v45, 0xbbad, v32
	v_lshl_add_u32 v26, v26, 1, 0
	v_add_f16_e32 v24, v30, v24
	v_add_f16_e32 v30, v31, v44
	;; [unrolled: 1-line block ×4, first 2 shown]
	ds_write_b16 v26, v7
	ds_write_b16 v26, v24 offset:32
	ds_write_b16 v26, v30 offset:64
	;; [unrolled: 1-line block ×10, first 2 shown]
.LBB0_41:
	s_or_b32 exec_lo, exec_lo, s1
	s_waitcnt lgkmcnt(0)
	s_barrier
	buffer_gl0_inv
	ds_read_u16 v23, v13
	ds_read_u16 v18, v16
	ds_read_u16 v31, v13 offset:1408
	ds_read_u16 v30, v13 offset:2464
	;; [unrolled: 1-line block ×7, first 2 shown]
	s_waitcnt lgkmcnt(0)
	s_barrier
	buffer_gl0_inv
	s_and_saveexec_b32 s1, s0
	s_cbranch_execz .LBB0_43
; %bb.42:
	v_add_f16_e32 v44, v8, v40
	v_sub_f16_e32 v42, v42, v43
	v_add_f16_e32 v43, v38, v36
	v_add_f16_e32 v40, v40, v37
	v_sub_f16_e32 v39, v39, v41
	v_add_f16_e32 v38, v44, v38
	v_mul_f16_e32 v44, 0xbb47, v42
	v_mul_f16_e32 v45, 0xbbeb, v42
	;; [unrolled: 1-line block ×4, first 2 shown]
	v_add_f16_e32 v38, v38, v28
	v_fmamk_f16 v51, v40, 0x36a6, v44
	v_fma_f16 v44, v40, 0x36a6, -v44
	v_mul_f16_e32 v46, 0xba0c, v42
	v_mul_f16_e32 v42, 0xb482, v42
	v_add_f16_e32 v38, v38, v21
	v_mul_f16_e32 v49, 0x3482, v39
	v_fmamk_f16 v52, v40, 0xb08e, v45
	v_fma_f16 v45, v40, 0xb08e, -v45
	v_add_f16_e32 v44, v8, v44
	v_add_f16_e32 v38, v38, v9
	v_mul_f16_e32 v47, 0xbb47, v39
	v_fmamk_f16 v50, v40, 0x3abb, v41
	v_fmamk_f16 v53, v40, 0xb93d, v46
	v_fma_f16 v46, v40, 0xb93d, -v46
	v_add_f16_e32 v38, v38, v17
	v_fmamk_f16 v54, v40, 0xbbad, v42
	v_fmamk_f16 v55, v43, 0xb93d, v48
	v_add_f16_e32 v45, v8, v45
	v_sub_f16_e32 v34, v34, v35
	v_add_f16_e32 v38, v38, v22
	v_fma_f16 v41, v40, 0x3abb, -v41
	v_fma_f16 v40, v40, 0xbbad, -v42
	v_fmamk_f16 v42, v43, 0x36a6, v47
	v_add_f16_e32 v50, v8, v50
	v_add_f16_e32 v38, v38, v29
	;; [unrolled: 1-line block ×3, first 2 shown]
	v_mul_f16_e32 v29, 0xbbeb, v34
	v_fma_f16 v47, v43, 0x36a6, -v47
	v_add_f16_e32 v41, v8, v41
	v_add_f16_e32 v36, v38, v36
	v_add_f16_e32 v38, v8, v46
	v_add_f16_e32 v46, v8, v54
	v_add_f16_e32 v51, v8, v51
	v_add_f16_e32 v52, v8, v52
	v_add_f16_e32 v36, v36, v37
	v_fma_f16 v37, v43, 0xb93d, -v48
	v_fma_f16 v48, v43, 0xbbad, -v49
	v_add_f16_e32 v53, v8, v53
	v_add_f16_e32 v8, v8, v40
	;; [unrolled: 1-line block ×4, first 2 shown]
	v_mul_f16_e32 v44, 0x3beb, v39
	v_mul_f16_e32 v39, 0x3853, v39
	v_add_f16_e32 v45, v48, v45
	v_fmamk_f16 v42, v43, 0xbbad, v49
	v_add_f16_e32 v41, v47, v41
	v_fmamk_f16 v35, v43, 0xb08e, v44
	v_fma_f16 v44, v43, 0xb08e, -v44
	v_fmamk_f16 v48, v43, 0x3abb, v39
	v_fma_f16 v39, v43, 0x3abb, -v39
	v_add_f16_e32 v42, v42, v52
	v_sub_f16_e32 v25, v25, v27
	v_add_f16_e32 v38, v44, v38
	v_add_f16_e32 v43, v48, v46
	v_fmamk_f16 v44, v28, 0xb08e, v29
	v_mul_f16_e32 v46, 0x3482, v34
	v_add_f16_e32 v8, v39, v8
	v_fma_f16 v29, v28, 0xb08e, -v29
	v_mul_f16_e32 v39, 0x3b47, v34
	v_add_f16_e32 v40, v44, v40
	v_fmamk_f16 v44, v28, 0xbbad, v46
	v_fma_f16 v46, v28, 0xbbad, -v46
	v_add_f16_e32 v29, v29, v41
	v_fmamk_f16 v41, v28, 0x36a6, v39
	v_add_f16_e32 v35, v35, v53
	v_fma_f16 v39, v28, 0x36a6, -v39
	v_add_f16_e32 v37, v46, v37
	v_mul_f16_e32 v46, 0xb853, v34
	v_add_f16_e32 v41, v41, v42
	v_mul_f16_e32 v27, 0xba0c, v34
	;; [unrolled: 2-line block ×3, first 2 shown]
	v_fmamk_f16 v34, v28, 0x3abb, v46
	v_fma_f16 v42, v28, 0x3abb, -v46
	v_add_f16_e32 v47, v55, v51
	v_add_f16_e32 v39, v39, v45
	v_fmamk_f16 v45, v28, 0xb93d, v27
	v_add_f16_e32 v34, v34, v35
	v_add_f16_e32 v35, v42, v38
	v_fma_f16 v27, v28, 0xb93d, -v27
	v_fmamk_f16 v28, v21, 0xb93d, v22
	v_mul_f16_e32 v42, 0x3beb, v25
	v_fma_f16 v22, v21, 0xb93d, -v22
	v_add_f16_e32 v44, v44, v47
	v_add_f16_e32 v8, v27, v8
	;; [unrolled: 1-line block ×3, first 2 shown]
	v_mul_f16_e32 v28, 0xb853, v25
	v_fmamk_f16 v40, v21, 0xb08e, v42
	v_add_f16_e32 v22, v22, v29
	v_mul_f16_e32 v29, 0xb482, v25
	v_mul_f16_e32 v25, 0x3b47, v25
	v_sub_f16_e32 v19, v19, v20
	v_add_f16_e32 v38, v45, v43
	v_fma_f16 v42, v21, 0xb08e, -v42
	v_fmamk_f16 v43, v21, 0x3abb, v28
	v_add_f16_e32 v40, v40, v44
	v_fma_f16 v28, v21, 0x3abb, -v28
	v_fmamk_f16 v44, v21, 0xbbad, v29
	v_fma_f16 v20, v21, 0xbbad, -v29
	v_fmamk_f16 v29, v21, 0x36a6, v25
	v_fma_f16 v21, v21, 0x36a6, -v25
	v_add_f16_e32 v9, v9, v17
	v_mul_f16_e32 v25, 0x3853, v19
	v_mul_f16_e32 v17, 0xb482, v19
	v_add_f16_e32 v37, v42, v37
	v_add_f16_e32 v20, v20, v35
	v_add_f16_e32 v29, v29, v38
	v_fmamk_f16 v35, v9, 0x3abb, v25
	v_fma_f16 v25, v9, 0x3abb, -v25
	v_add_f16_e32 v8, v21, v8
	v_fmamk_f16 v21, v9, 0xbbad, v17
	v_fma_f16 v17, v9, 0xbbad, -v17
	v_mul_f16_e32 v38, 0xba0c, v19
	v_mul_u32_u24_e32 v3, 0xb0, v3
	v_add_f16_e32 v25, v25, v37
	v_mul_f16_e32 v37, 0x3b47, v19
	v_add_f16_e32 v28, v28, v39
	v_add_f16_e32 v17, v17, v22
	;; [unrolled: 1-line block ×3, first 2 shown]
	v_fma_f16 v35, v9, 0xb93d, -v38
	v_mul_f16_e32 v19, 0xbbeb, v19
	v_or_b32_e32 v3, v3, v5
	v_add_f16_e32 v41, v43, v41
	v_add_f16_e32 v21, v21, v27
	v_fmamk_f16 v27, v9, 0xb93d, v38
	v_add_f16_e32 v34, v44, v34
	v_fmamk_f16 v5, v9, 0x36a6, v37
	v_add_f16_e32 v28, v35, v28
	v_fma_f16 v35, v9, 0x36a6, -v37
	v_fmamk_f16 v37, v9, 0xb08e, v19
	v_fma_f16 v9, v9, 0xb08e, -v19
	v_lshl_add_u32 v3, v3, 1, 0
	v_add_f16_e32 v27, v27, v41
	v_add_f16_e32 v5, v5, v34
	;; [unrolled: 1-line block ×5, first 2 shown]
	ds_write_b16 v3, v36
	ds_write_b16 v3, v21 offset:32
	ds_write_b16 v3, v22 offset:64
	;; [unrolled: 1-line block ×10, first 2 shown]
.LBB0_43:
	s_or_b32 exec_lo, exec_lo, s1
	v_mov_b32_e32 v3, 0
	s_waitcnt lgkmcnt(0)
	s_barrier
	buffer_gl0_inv
	v_lshlrev_b64 v[8:9], 2, v[2:3]
	v_mov_b32_e32 v2, 0xba2f
	v_mul_u32_u24_sdwa v2, v12, v2 dst_sel:DWORD dst_unused:UNUSED_PAD src0_sel:WORD_0 src1_sel:DWORD
	v_add_co_u32 v8, s0, s8, v8
	v_add_co_ci_u32_e64 v9, s0, s9, v9, s0
	v_lshrrev_b32_e32 v2, 23, v2
	global_load_dwordx2 v[19:20], v[8:9], off offset:688
	v_mul_lo_u16 v2, 0xb0, v2
	v_sub_nc_u16 v2, v12, v2
	v_and_b32_e32 v2, 0xffff, v2
	v_lshlrev_b32_e32 v5, 3, v2
	v_lshl_add_u32 v37, v2, 1, 0
	global_load_dwordx2 v[21:22], v5, s[8:9] offset:688
	ds_read_u16 v5, v13 offset:1056
	ds_read_u16 v17, v13 offset:2112
	;; [unrolled: 1-line block ×4, first 2 shown]
	ds_read_u16 v28, v13
	ds_read_u16 v29, v16
	ds_read_u16 v34, v13 offset:2816
	ds_read_u16 v35, v13 offset:1760
	;; [unrolled: 1-line block ×3, first 2 shown]
	s_waitcnt vmcnt(0) lgkmcnt(0)
	s_barrier
	buffer_gl0_inv
	v_mul_f16_sdwa v2, v5, v19 dst_sel:DWORD dst_unused:UNUSED_PAD src0_sel:DWORD src1_sel:WORD_1
	v_mul_f16_sdwa v38, v33, v19 dst_sel:DWORD dst_unused:UNUSED_PAD src0_sel:DWORD src1_sel:WORD_1
	;; [unrolled: 1-line block ×8, first 2 shown]
	v_fma_f16 v2, v33, v19, -v2
	v_fmac_f16_e32 v38, v5, v19
	v_fmac_f16_e32 v40, v17, v20
	v_fma_f16 v17, v31, v19, -v41
	v_fma_f16 v5, v32, v20, -v39
	v_fmac_f16_e32 v42, v25, v19
	v_fma_f16 v19, v30, v20, -v43
	v_fmac_f16_e32 v44, v27, v20
	v_add_f16_e32 v20, v23, v2
	v_add_f16_e32 v31, v38, v40
	;; [unrolled: 1-line block ×4, first 2 shown]
	v_sub_f16_e32 v27, v38, v40
	v_add_f16_e32 v30, v28, v38
	v_sub_f16_e32 v2, v2, v5
	v_add_f16_e32 v33, v17, v19
	;; [unrolled: 2-line block ×3, first 2 shown]
	v_add_f16_e32 v41, v42, v44
	v_sub_f16_e32 v42, v17, v19
	v_add_f16_e32 v5, v20, v5
	v_fmac_f16_e32 v28, -0.5, v31
	v_add_f16_e32 v17, v32, v19
	v_mul_f16_sdwa v19, v35, v21 dst_sel:DWORD dst_unused:UNUSED_PAD src0_sel:DWORD src1_sel:WORD_1
	v_mul_f16_sdwa v31, v34, v22 dst_sel:DWORD dst_unused:UNUSED_PAD src0_sel:DWORD src1_sel:WORD_1
	v_fmac_f16_e32 v23, -0.5, v25
	v_fmac_f16_e32 v18, -0.5, v33
	v_mul_f16_sdwa v20, v26, v21 dst_sel:DWORD dst_unused:UNUSED_PAD src0_sel:DWORD src1_sel:WORD_1
	v_mul_f16_sdwa v32, v24, v22 dst_sel:DWORD dst_unused:UNUSED_PAD src0_sel:DWORD src1_sel:WORD_1
	ds_write_b16 v13, v5
	v_fma_f16 v5, v26, v21, -v19
	v_fma_f16 v19, v24, v22, -v31
	v_fmamk_f16 v33, v27, 0x3aee, v23
	v_fmac_f16_e32 v23, 0xbaee, v27
	v_fmamk_f16 v27, v2, 0xbaee, v28
	v_fmac_f16_e32 v28, 0x3aee, v2
	v_fmamk_f16 v2, v38, 0x3aee, v18
	ds_write_b16 v13, v17 offset:1056
	v_fmac_f16_e32 v20, v35, v21
	v_fmac_f16_e32 v32, v34, v22
	v_add_f16_e32 v17, v5, v19
	ds_write_b16 v13, v33 offset:352
	ds_write_b16 v13, v23 offset:704
	;; [unrolled: 1-line block ×3, first 2 shown]
	v_add_f16_e32 v2, v7, v5
	v_fmac_f16_e32 v18, 0xbaee, v38
	v_sub_f16_e32 v21, v20, v32
	v_fmac_f16_e32 v7, -0.5, v17
	v_add_f16_e32 v17, v20, v32
	v_add_f16_e32 v2, v2, v19
	ds_write_b16 v13, v18 offset:1760
	v_add_f16_e32 v26, v36, v20
	v_fmamk_f16 v18, v21, 0x3aee, v7
	v_fmac_f16_e32 v7, 0xbaee, v21
	v_sub_f16_e32 v5, v5, v19
	v_fmac_f16_e32 v36, -0.5, v17
	ds_write_b16 v37, v2 offset:2112
	ds_write_b16 v37, v18 offset:2464
	;; [unrolled: 1-line block ×3, first 2 shown]
	s_waitcnt lgkmcnt(0)
	s_barrier
	buffer_gl0_inv
	ds_read_u16 v2, v13
	ds_read_u16 v17, v16
	ds_read_u16 v20, v13 offset:1408
	ds_read_u16 v21, v13 offset:2464
	;; [unrolled: 1-line block ×7, first 2 shown]
	v_fmac_f16_e32 v29, -0.5, v41
	v_add_f16_e32 v25, v30, v40
	v_add_f16_e32 v30, v39, v44
	v_add_f16_e32 v7, v26, v32
	v_fmamk_f16 v26, v5, 0xbaee, v36
	v_fmamk_f16 v38, v42, 0xbaee, v29
	v_fmac_f16_e32 v29, 0x3aee, v42
	v_fmac_f16_e32 v36, 0x3aee, v5
	s_waitcnt lgkmcnt(0)
	s_barrier
	buffer_gl0_inv
	ds_write_b16 v13, v25
	ds_write_b16 v13, v27 offset:352
	ds_write_b16 v13, v28 offset:704
	;; [unrolled: 1-line block ×8, first 2 shown]
	s_waitcnt lgkmcnt(0)
	s_barrier
	buffer_gl0_inv
	s_and_saveexec_b32 s0, vcc_lo
	s_cbranch_execz .LBB0_45
; %bb.44:
	v_mov_b32_e32 v7, v3
	v_mov_b32_e32 v5, v3
	v_add_nc_u32_e32 v37, 0x420, v10
	v_mad_u64_u32 v[27:28], null, s2, v11, 0
	v_lshlrev_b64 v[6:7], 2, v[6:7]
	v_lshlrev_b64 v[3:4], 2, v[4:5]
	v_add_nc_u32_e32 v49, 0x4d0, v10
	v_mul_hi_u32 v35, 0x3e0f83e1, v12
	v_mad_u64_u32 v[29:30], null, s2, v15, 0
	v_add_co_u32 v5, vcc_lo, s8, v6
	v_add_co_ci_u32_e32 v6, vcc_lo, s9, v7, vcc_lo
	v_add_co_u32 v7, vcc_lo, s8, v3
	v_add_co_ci_u32_e32 v25, vcc_lo, s9, v4, vcc_lo
	;; [unrolled: 2-line block ×5, first 2 shown]
	s_clause 0x2
	global_load_dwordx2 v[3:4], v[3:4], off offset:48
	global_load_dwordx2 v[5:6], v[5:6], off offset:48
	;; [unrolled: 1-line block ×3, first 2 shown]
	v_mad_u64_u32 v[25:26], null, s2, v10, 0
	v_add_co_u32 v47, vcc_lo, s12, v0
	v_add_co_ci_u32_e32 v48, vcc_lo, s13, v1, vcc_lo
	v_mad_u64_u32 v[0:1], null, s2, v14, 0
	v_mad_u64_u32 v[31:32], null, s2, v37, 0
	;; [unrolled: 1-line block ×3, first 2 shown]
	v_mov_b32_e32 v9, v26
	ds_read_u16 v38, v16
	ds_read_u16 v39, v13 offset:2816
	ds_read_u16 v40, v13 offset:2464
	;; [unrolled: 1-line block ×7, first 2 shown]
	ds_read_u16 v46, v13
	v_mov_b32_e32 v13, v28
	v_lshrrev_b32_e32 v26, 7, v35
	v_mov_b32_e32 v16, v30
	v_mad_u64_u32 v[9:10], null, s3, v10, v[9:10]
	v_mad_u64_u32 v[35:36], null, s3, v14, v[1:2]
	v_mov_b32_e32 v1, v32
	v_mad_u64_u32 v[10:11], null, s3, v11, v[13:14]
	v_mov_b32_e32 v11, v34
	v_mad_u32_u24 v36, 0x420, v26, v12
	v_mad_u64_u32 v[13:14], null, s3, v15, v[16:17]
	v_mad_u64_u32 v[14:15], null, s3, v37, v[1:2]
	;; [unrolled: 1-line block ×4, first 2 shown]
	v_add_nc_u32_e32 v49, 0x420, v36
	v_add_nc_u32_e32 v37, 0x210, v36
	v_mov_b32_e32 v26, v9
	v_mov_b32_e32 v30, v13
	;; [unrolled: 1-line block ×3, first 2 shown]
	v_mad_u64_u32 v[12:13], null, s2, v49, 0
	v_mov_b32_e32 v34, v11
	v_mov_b32_e32 v11, v16
	;; [unrolled: 1-line block ×3, first 2 shown]
	v_mad_u64_u32 v[9:10], null, s2, v37, 0
	v_lshlrev_b64 v[25:26], 2, v[25:26]
	v_lshlrev_b64 v[0:1], 2, v[0:1]
	v_mad_u64_u32 v[35:36], null, s3, v36, v[11:12]
	v_mov_b32_e32 v11, v13
	v_lshlrev_b64 v[27:28], 2, v[27:28]
	v_add_co_u32 v25, vcc_lo, v47, v25
	v_mov_b32_e32 v32, v14
	v_add_co_ci_u32_e32 v26, vcc_lo, v48, v26, vcc_lo
	v_mad_u64_u32 v[13:14], null, s3, v37, v[10:11]
	v_lshlrev_b64 v[29:30], 2, v[29:30]
	v_add_co_u32 v0, vcc_lo, v47, v0
	v_add_co_ci_u32_e32 v1, vcc_lo, v48, v1, vcc_lo
	v_mad_u64_u32 v[36:37], null, s3, v49, v[11:12]
	v_lshlrev_b64 v[31:32], 2, v[31:32]
	v_add_co_u32 v27, vcc_lo, v47, v27
	v_mov_b32_e32 v16, v35
	v_add_co_ci_u32_e32 v28, vcc_lo, v48, v28, vcc_lo
	v_lshlrev_b64 v[33:34], 2, v[33:34]
	v_add_co_u32 v29, vcc_lo, v47, v29
	v_mov_b32_e32 v10, v13
	v_add_co_ci_u32_e32 v30, vcc_lo, v48, v30, vcc_lo
	v_add_co_u32 v31, vcc_lo, v47, v31
	v_lshlrev_b64 v[14:15], 2, v[15:16]
	v_mov_b32_e32 v13, v36
	v_add_co_ci_u32_e32 v32, vcc_lo, v48, v32, vcc_lo
	v_add_co_u32 v33, vcc_lo, v47, v33
	v_lshlrev_b64 v[9:10], 2, v[9:10]
	v_add_co_ci_u32_e32 v34, vcc_lo, v48, v34, vcc_lo
	v_lshlrev_b64 v[11:12], 2, v[12:13]
	v_add_co_u32 v13, vcc_lo, v47, v14
	v_add_co_ci_u32_e32 v14, vcc_lo, v48, v15, vcc_lo
	v_add_co_u32 v9, vcc_lo, v47, v9
	v_add_co_ci_u32_e32 v10, vcc_lo, v48, v10, vcc_lo
	;; [unrolled: 2-line block ×3, first 2 shown]
	s_waitcnt vmcnt(2) lgkmcnt(4)
	v_mul_f16_sdwa v15, v42, v3 dst_sel:DWORD dst_unused:UNUSED_PAD src0_sel:DWORD src1_sel:WORD_1
	v_mul_f16_sdwa v16, v39, v4 dst_sel:DWORD dst_unused:UNUSED_PAD src0_sel:DWORD src1_sel:WORD_1
	v_mul_f16_sdwa v35, v24, v3 dst_sel:DWORD dst_unused:UNUSED_PAD src0_sel:DWORD src1_sel:WORD_1
	v_mul_f16_sdwa v36, v23, v4 dst_sel:DWORD dst_unused:UNUSED_PAD src0_sel:DWORD src1_sel:WORD_1
	s_waitcnt vmcnt(1) lgkmcnt(3)
	v_mul_f16_sdwa v37, v43, v5 dst_sel:DWORD dst_unused:UNUSED_PAD src0_sel:DWORD src1_sel:WORD_1
	v_mul_f16_sdwa v47, v40, v6 dst_sel:DWORD dst_unused:UNUSED_PAD src0_sel:DWORD src1_sel:WORD_1
	v_mul_f16_sdwa v48, v20, v5 dst_sel:DWORD dst_unused:UNUSED_PAD src0_sel:DWORD src1_sel:WORD_1
	v_mul_f16_sdwa v49, v21, v6 dst_sel:DWORD dst_unused:UNUSED_PAD src0_sel:DWORD src1_sel:WORD_1
	;; [unrolled: 5-line block ×3, first 2 shown]
	v_fma_f16 v15, v24, v3, -v15
	v_fma_f16 v16, v23, v4, -v16
	v_fmac_f16_e32 v35, v3, v42
	v_fmac_f16_e32 v36, v4, v39
	v_fma_f16 v3, v20, v5, -v37
	v_fma_f16 v4, v21, v6, -v47
	v_fmac_f16_e32 v48, v5, v43
	v_fmac_f16_e32 v49, v6, v40
	;; [unrolled: 4-line block ×3, first 2 shown]
	v_sub_f16_e32 v7, v15, v16
	v_add_f16_e32 v8, v35, v36
	v_add_f16_e32 v19, v15, v16
	;; [unrolled: 1-line block ×3, first 2 shown]
	v_sub_f16_e32 v22, v3, v4
	v_add_f16_e32 v23, v48, v49
	v_add_f16_e32 v24, v3, v4
	;; [unrolled: 1-line block ×5, first 2 shown]
	v_sub_f16_e32 v39, v5, v6
	s_waitcnt lgkmcnt(0)
	v_add_f16_e32 v43, v52, v46
	v_add_f16_e32 v5, v2, v5
	;; [unrolled: 1-line block ×3, first 2 shown]
	v_sub_f16_e32 v42, v52, v53
	v_fma_f16 v8, -0.5, v8, v45
	v_add_f16_e32 v15, v15, v16
	v_fma_f16 v16, -0.5, v23, v38
	v_add_f16_e32 v3, v3, v4
	v_fma_f16 v4, -0.5, v40, v46
	v_fma_f16 v2, -0.5, v41, v2
	v_add_f16_e32 v37, v48, v38
	v_sub_f16_e32 v20, v35, v36
	v_sub_f16_e32 v35, v48, v49
	v_fma_f16 v18, -0.5, v19, v18
	v_fma_f16 v17, -0.5, v24, v17
	v_add_f16_e32 v23, v53, v43
	v_add_f16_e32 v5, v5, v6
	;; [unrolled: 1-line block ×3, first 2 shown]
	v_fmamk_f16 v6, v7, 0x3aee, v8
	v_fmac_f16_e32 v8, 0xbaee, v7
	v_fmamk_f16 v7, v22, 0x3aee, v16
	v_fmac_f16_e32 v16, 0xbaee, v22
	v_fmamk_f16 v22, v39, 0x3aee, v4
	v_fmamk_f16 v36, v42, 0xbaee, v2
	v_fmac_f16_e32 v4, 0xbaee, v39
	v_fmac_f16_e32 v2, 0x3aee, v42
	v_add_f16_e32 v21, v49, v37
	v_fmamk_f16 v24, v20, 0xbaee, v18
	v_fmac_f16_e32 v18, 0x3aee, v20
	v_fmamk_f16 v20, v35, 0xbaee, v17
	v_pack_b32_f16 v5, v5, v23
	v_fmac_f16_e32 v17, 0x3aee, v35
	v_pack_b32_f16 v2, v2, v4
	v_pack_b32_f16 v4, v36, v22
	;; [unrolled: 1-line block ×3, first 2 shown]
	global_store_dword v[25:26], v5, off
	v_pack_b32_f16 v5, v17, v16
	v_pack_b32_f16 v7, v20, v7
	;; [unrolled: 1-line block ×5, first 2 shown]
	global_store_dword v[0:1], v2, off
	global_store_dword v[31:32], v4, off
	;; [unrolled: 1-line block ×8, first 2 shown]
.LBB0_45:
	s_endpgm
	.section	.rodata,"a",@progbits
	.p2align	6, 0x0
	.amdhsa_kernel fft_rtc_fwd_len1584_factors_4_2_2_11_3_3_wgs_176_tpt_176_halfLds_half_ip_CI_sbrr_dirReg
		.amdhsa_group_segment_fixed_size 0
		.amdhsa_private_segment_fixed_size 0
		.amdhsa_kernarg_size 88
		.amdhsa_user_sgpr_count 6
		.amdhsa_user_sgpr_private_segment_buffer 1
		.amdhsa_user_sgpr_dispatch_ptr 0
		.amdhsa_user_sgpr_queue_ptr 0
		.amdhsa_user_sgpr_kernarg_segment_ptr 1
		.amdhsa_user_sgpr_dispatch_id 0
		.amdhsa_user_sgpr_flat_scratch_init 0
		.amdhsa_user_sgpr_private_segment_size 0
		.amdhsa_wavefront_size32 1
		.amdhsa_uses_dynamic_stack 0
		.amdhsa_system_sgpr_private_segment_wavefront_offset 0
		.amdhsa_system_sgpr_workgroup_id_x 1
		.amdhsa_system_sgpr_workgroup_id_y 0
		.amdhsa_system_sgpr_workgroup_id_z 0
		.amdhsa_system_sgpr_workgroup_info 0
		.amdhsa_system_vgpr_workitem_id 0
		.amdhsa_next_free_vgpr 66
		.amdhsa_next_free_sgpr 23
		.amdhsa_reserve_vcc 1
		.amdhsa_reserve_flat_scratch 0
		.amdhsa_float_round_mode_32 0
		.amdhsa_float_round_mode_16_64 0
		.amdhsa_float_denorm_mode_32 3
		.amdhsa_float_denorm_mode_16_64 3
		.amdhsa_dx10_clamp 1
		.amdhsa_ieee_mode 1
		.amdhsa_fp16_overflow 0
		.amdhsa_workgroup_processor_mode 1
		.amdhsa_memory_ordered 1
		.amdhsa_forward_progress 0
		.amdhsa_shared_vgpr_count 0
		.amdhsa_exception_fp_ieee_invalid_op 0
		.amdhsa_exception_fp_denorm_src 0
		.amdhsa_exception_fp_ieee_div_zero 0
		.amdhsa_exception_fp_ieee_overflow 0
		.amdhsa_exception_fp_ieee_underflow 0
		.amdhsa_exception_fp_ieee_inexact 0
		.amdhsa_exception_int_div_zero 0
	.end_amdhsa_kernel
	.text
.Lfunc_end0:
	.size	fft_rtc_fwd_len1584_factors_4_2_2_11_3_3_wgs_176_tpt_176_halfLds_half_ip_CI_sbrr_dirReg, .Lfunc_end0-fft_rtc_fwd_len1584_factors_4_2_2_11_3_3_wgs_176_tpt_176_halfLds_half_ip_CI_sbrr_dirReg
                                        ; -- End function
	.section	.AMDGPU.csdata,"",@progbits
; Kernel info:
; codeLenInByte = 9352
; NumSgprs: 25
; NumVgprs: 66
; ScratchSize: 0
; MemoryBound: 0
; FloatMode: 240
; IeeeMode: 1
; LDSByteSize: 0 bytes/workgroup (compile time only)
; SGPRBlocks: 3
; VGPRBlocks: 8
; NumSGPRsForWavesPerEU: 25
; NumVGPRsForWavesPerEU: 66
; Occupancy: 12
; WaveLimiterHint : 1
; COMPUTE_PGM_RSRC2:SCRATCH_EN: 0
; COMPUTE_PGM_RSRC2:USER_SGPR: 6
; COMPUTE_PGM_RSRC2:TRAP_HANDLER: 0
; COMPUTE_PGM_RSRC2:TGID_X_EN: 1
; COMPUTE_PGM_RSRC2:TGID_Y_EN: 0
; COMPUTE_PGM_RSRC2:TGID_Z_EN: 0
; COMPUTE_PGM_RSRC2:TIDIG_COMP_CNT: 0
	.text
	.p2alignl 6, 3214868480
	.fill 48, 4, 3214868480
	.type	__hip_cuid_fd530fd3e54e841f,@object ; @__hip_cuid_fd530fd3e54e841f
	.section	.bss,"aw",@nobits
	.globl	__hip_cuid_fd530fd3e54e841f
__hip_cuid_fd530fd3e54e841f:
	.byte	0                               ; 0x0
	.size	__hip_cuid_fd530fd3e54e841f, 1

	.ident	"AMD clang version 19.0.0git (https://github.com/RadeonOpenCompute/llvm-project roc-6.4.0 25133 c7fe45cf4b819c5991fe208aaa96edf142730f1d)"
	.section	".note.GNU-stack","",@progbits
	.addrsig
	.addrsig_sym __hip_cuid_fd530fd3e54e841f
	.amdgpu_metadata
---
amdhsa.kernels:
  - .args:
      - .actual_access:  read_only
        .address_space:  global
        .offset:         0
        .size:           8
        .value_kind:     global_buffer
      - .offset:         8
        .size:           8
        .value_kind:     by_value
      - .actual_access:  read_only
        .address_space:  global
        .offset:         16
        .size:           8
        .value_kind:     global_buffer
      - .actual_access:  read_only
        .address_space:  global
        .offset:         24
        .size:           8
        .value_kind:     global_buffer
      - .offset:         32
        .size:           8
        .value_kind:     by_value
      - .actual_access:  read_only
        .address_space:  global
        .offset:         40
        .size:           8
        .value_kind:     global_buffer
      - .actual_access:  read_only
        .address_space:  global
        .offset:         48
        .size:           8
        .value_kind:     global_buffer
      - .offset:         56
        .size:           4
        .value_kind:     by_value
      - .actual_access:  read_only
        .address_space:  global
        .offset:         64
        .size:           8
        .value_kind:     global_buffer
      - .actual_access:  read_only
        .address_space:  global
        .offset:         72
        .size:           8
        .value_kind:     global_buffer
      - .address_space:  global
        .offset:         80
        .size:           8
        .value_kind:     global_buffer
    .group_segment_fixed_size: 0
    .kernarg_segment_align: 8
    .kernarg_segment_size: 88
    .language:       OpenCL C
    .language_version:
      - 2
      - 0
    .max_flat_workgroup_size: 176
    .name:           fft_rtc_fwd_len1584_factors_4_2_2_11_3_3_wgs_176_tpt_176_halfLds_half_ip_CI_sbrr_dirReg
    .private_segment_fixed_size: 0
    .sgpr_count:     25
    .sgpr_spill_count: 0
    .symbol:         fft_rtc_fwd_len1584_factors_4_2_2_11_3_3_wgs_176_tpt_176_halfLds_half_ip_CI_sbrr_dirReg.kd
    .uniform_work_group_size: 1
    .uses_dynamic_stack: false
    .vgpr_count:     66
    .vgpr_spill_count: 0
    .wavefront_size: 32
    .workgroup_processor_mode: 1
amdhsa.target:   amdgcn-amd-amdhsa--gfx1030
amdhsa.version:
  - 1
  - 2
...

	.end_amdgpu_metadata
